;; amdgpu-corpus repo=ROCm/rocFFT kind=compiled arch=gfx1201 opt=O3
	.text
	.amdgcn_target "amdgcn-amd-amdhsa--gfx1201"
	.amdhsa_code_object_version 6
	.protected	fft_rtc_back_len990_factors_2_3_3_5_11_wgs_110_tpt_110_dp_ip_CI_unitstride_sbrr_C2R_dirReg ; -- Begin function fft_rtc_back_len990_factors_2_3_3_5_11_wgs_110_tpt_110_dp_ip_CI_unitstride_sbrr_C2R_dirReg
	.globl	fft_rtc_back_len990_factors_2_3_3_5_11_wgs_110_tpt_110_dp_ip_CI_unitstride_sbrr_C2R_dirReg
	.p2align	8
	.type	fft_rtc_back_len990_factors_2_3_3_5_11_wgs_110_tpt_110_dp_ip_CI_unitstride_sbrr_C2R_dirReg,@function
fft_rtc_back_len990_factors_2_3_3_5_11_wgs_110_tpt_110_dp_ip_CI_unitstride_sbrr_C2R_dirReg: ; @fft_rtc_back_len990_factors_2_3_3_5_11_wgs_110_tpt_110_dp_ip_CI_unitstride_sbrr_C2R_dirReg
; %bb.0:
	s_clause 0x2
	s_load_b128 s[4:7], s[0:1], 0x0
	s_load_b64 s[8:9], s[0:1], 0x50
	s_load_b64 s[10:11], s[0:1], 0x18
	v_mul_u32_u24_e32 v1, 0x254, v0
	v_mov_b32_e32 v3, 0
	s_delay_alu instid0(VALU_DEP_2) | instskip(NEXT) | instid1(VALU_DEP_1)
	v_lshrrev_b32_e32 v1, 16, v1
	v_add_nc_u32_e32 v5, ttmp9, v1
	v_mov_b32_e32 v1, 0
	v_mov_b32_e32 v2, 0
	;; [unrolled: 1-line block ×3, first 2 shown]
	s_wait_kmcnt 0x0
	v_cmp_lt_u64_e64 s2, s[6:7], 2
	s_delay_alu instid0(VALU_DEP_1)
	s_and_b32 vcc_lo, exec_lo, s2
	s_cbranch_vccnz .LBB0_8
; %bb.1:
	s_load_b64 s[2:3], s[0:1], 0x10
	v_mov_b32_e32 v1, 0
	v_mov_b32_e32 v2, 0
	s_add_nc_u64 s[12:13], s[10:11], 8
	s_mov_b64 s[14:15], 1
	s_wait_kmcnt 0x0
	s_add_nc_u64 s[16:17], s[2:3], 8
	s_mov_b32 s3, 0
.LBB0_2:                                ; =>This Inner Loop Header: Depth=1
	s_load_b64 s[18:19], s[16:17], 0x0
                                        ; implicit-def: $vgpr7_vgpr8
	s_mov_b32 s2, exec_lo
	s_wait_kmcnt 0x0
	v_or_b32_e32 v4, s19, v6
	s_delay_alu instid0(VALU_DEP_1)
	v_cmpx_ne_u64_e32 0, v[3:4]
	s_wait_alu 0xfffe
	s_xor_b32 s20, exec_lo, s2
	s_cbranch_execz .LBB0_4
; %bb.3:                                ;   in Loop: Header=BB0_2 Depth=1
	s_cvt_f32_u32 s2, s18
	s_cvt_f32_u32 s21, s19
	s_sub_nc_u64 s[24:25], 0, s[18:19]
	s_wait_alu 0xfffe
	s_delay_alu instid0(SALU_CYCLE_1) | instskip(SKIP_1) | instid1(SALU_CYCLE_2)
	s_fmamk_f32 s2, s21, 0x4f800000, s2
	s_wait_alu 0xfffe
	v_s_rcp_f32 s2, s2
	s_delay_alu instid0(TRANS32_DEP_1) | instskip(SKIP_1) | instid1(SALU_CYCLE_2)
	s_mul_f32 s2, s2, 0x5f7ffffc
	s_wait_alu 0xfffe
	s_mul_f32 s21, s2, 0x2f800000
	s_wait_alu 0xfffe
	s_delay_alu instid0(SALU_CYCLE_2) | instskip(SKIP_1) | instid1(SALU_CYCLE_2)
	s_trunc_f32 s21, s21
	s_wait_alu 0xfffe
	s_fmamk_f32 s2, s21, 0xcf800000, s2
	s_cvt_u32_f32 s23, s21
	s_wait_alu 0xfffe
	s_delay_alu instid0(SALU_CYCLE_1) | instskip(SKIP_1) | instid1(SALU_CYCLE_2)
	s_cvt_u32_f32 s22, s2
	s_wait_alu 0xfffe
	s_mul_u64 s[26:27], s[24:25], s[22:23]
	s_wait_alu 0xfffe
	s_mul_hi_u32 s29, s22, s27
	s_mul_i32 s28, s22, s27
	s_mul_hi_u32 s2, s22, s26
	s_mul_i32 s30, s23, s26
	s_wait_alu 0xfffe
	s_add_nc_u64 s[28:29], s[2:3], s[28:29]
	s_mul_hi_u32 s21, s23, s26
	s_mul_hi_u32 s31, s23, s27
	s_add_co_u32 s2, s28, s30
	s_wait_alu 0xfffe
	s_add_co_ci_u32 s2, s29, s21
	s_mul_i32 s26, s23, s27
	s_add_co_ci_u32 s27, s31, 0
	s_wait_alu 0xfffe
	s_add_nc_u64 s[26:27], s[2:3], s[26:27]
	s_wait_alu 0xfffe
	v_add_co_u32 v4, s2, s22, s26
	s_delay_alu instid0(VALU_DEP_1) | instskip(SKIP_1) | instid1(VALU_DEP_1)
	s_cmp_lg_u32 s2, 0
	s_add_co_ci_u32 s23, s23, s27
	v_readfirstlane_b32 s22, v4
	s_wait_alu 0xfffe
	s_delay_alu instid0(VALU_DEP_1)
	s_mul_u64 s[24:25], s[24:25], s[22:23]
	s_wait_alu 0xfffe
	s_mul_hi_u32 s27, s22, s25
	s_mul_i32 s26, s22, s25
	s_mul_hi_u32 s2, s22, s24
	s_mul_i32 s28, s23, s24
	s_wait_alu 0xfffe
	s_add_nc_u64 s[26:27], s[2:3], s[26:27]
	s_mul_hi_u32 s21, s23, s24
	s_mul_hi_u32 s22, s23, s25
	s_wait_alu 0xfffe
	s_add_co_u32 s2, s26, s28
	s_add_co_ci_u32 s2, s27, s21
	s_mul_i32 s24, s23, s25
	s_add_co_ci_u32 s25, s22, 0
	s_wait_alu 0xfffe
	s_add_nc_u64 s[24:25], s[2:3], s[24:25]
	s_wait_alu 0xfffe
	v_add_co_u32 v4, s2, v4, s24
	s_delay_alu instid0(VALU_DEP_1) | instskip(SKIP_1) | instid1(VALU_DEP_1)
	s_cmp_lg_u32 s2, 0
	s_add_co_ci_u32 s2, s23, s25
	v_mul_hi_u32 v13, v5, v4
	s_wait_alu 0xfffe
	v_mad_co_u64_u32 v[7:8], null, v5, s2, 0
	v_mad_co_u64_u32 v[9:10], null, v6, v4, 0
	;; [unrolled: 1-line block ×3, first 2 shown]
	s_delay_alu instid0(VALU_DEP_3) | instskip(SKIP_1) | instid1(VALU_DEP_4)
	v_add_co_u32 v4, vcc_lo, v13, v7
	s_wait_alu 0xfffd
	v_add_co_ci_u32_e32 v7, vcc_lo, 0, v8, vcc_lo
	s_delay_alu instid0(VALU_DEP_2) | instskip(SKIP_1) | instid1(VALU_DEP_2)
	v_add_co_u32 v4, vcc_lo, v4, v9
	s_wait_alu 0xfffd
	v_add_co_ci_u32_e32 v4, vcc_lo, v7, v10, vcc_lo
	s_wait_alu 0xfffd
	v_add_co_ci_u32_e32 v7, vcc_lo, 0, v12, vcc_lo
	s_delay_alu instid0(VALU_DEP_2) | instskip(SKIP_1) | instid1(VALU_DEP_2)
	v_add_co_u32 v4, vcc_lo, v4, v11
	s_wait_alu 0xfffd
	v_add_co_ci_u32_e32 v9, vcc_lo, 0, v7, vcc_lo
	s_delay_alu instid0(VALU_DEP_2) | instskip(SKIP_1) | instid1(VALU_DEP_3)
	v_mul_lo_u32 v10, s19, v4
	v_mad_co_u64_u32 v[7:8], null, s18, v4, 0
	v_mul_lo_u32 v11, s18, v9
	s_delay_alu instid0(VALU_DEP_2) | instskip(NEXT) | instid1(VALU_DEP_2)
	v_sub_co_u32 v7, vcc_lo, v5, v7
	v_add3_u32 v8, v8, v11, v10
	s_delay_alu instid0(VALU_DEP_1) | instskip(SKIP_1) | instid1(VALU_DEP_1)
	v_sub_nc_u32_e32 v10, v6, v8
	s_wait_alu 0xfffd
	v_subrev_co_ci_u32_e64 v10, s2, s19, v10, vcc_lo
	v_add_co_u32 v11, s2, v4, 2
	s_wait_alu 0xf1ff
	v_add_co_ci_u32_e64 v12, s2, 0, v9, s2
	v_sub_co_u32 v13, s2, v7, s18
	v_sub_co_ci_u32_e32 v8, vcc_lo, v6, v8, vcc_lo
	s_wait_alu 0xf1ff
	v_subrev_co_ci_u32_e64 v10, s2, 0, v10, s2
	s_delay_alu instid0(VALU_DEP_3) | instskip(NEXT) | instid1(VALU_DEP_3)
	v_cmp_le_u32_e32 vcc_lo, s18, v13
	v_cmp_eq_u32_e64 s2, s19, v8
	s_wait_alu 0xfffd
	v_cndmask_b32_e64 v13, 0, -1, vcc_lo
	v_cmp_le_u32_e32 vcc_lo, s19, v10
	s_wait_alu 0xfffd
	v_cndmask_b32_e64 v14, 0, -1, vcc_lo
	v_cmp_le_u32_e32 vcc_lo, s18, v7
	;; [unrolled: 3-line block ×3, first 2 shown]
	s_wait_alu 0xfffd
	v_cndmask_b32_e64 v15, 0, -1, vcc_lo
	v_cmp_eq_u32_e32 vcc_lo, s19, v10
	s_wait_alu 0xf1ff
	s_delay_alu instid0(VALU_DEP_2)
	v_cndmask_b32_e64 v7, v15, v7, s2
	s_wait_alu 0xfffd
	v_cndmask_b32_e32 v10, v14, v13, vcc_lo
	v_add_co_u32 v13, vcc_lo, v4, 1
	s_wait_alu 0xfffd
	v_add_co_ci_u32_e32 v14, vcc_lo, 0, v9, vcc_lo
	s_delay_alu instid0(VALU_DEP_3) | instskip(SKIP_2) | instid1(VALU_DEP_3)
	v_cmp_ne_u32_e32 vcc_lo, 0, v10
	s_wait_alu 0xfffd
	v_cndmask_b32_e32 v10, v13, v11, vcc_lo
	v_cndmask_b32_e32 v8, v14, v12, vcc_lo
	v_cmp_ne_u32_e32 vcc_lo, 0, v7
	s_wait_alu 0xfffd
	s_delay_alu instid0(VALU_DEP_2)
	v_dual_cndmask_b32 v7, v4, v10 :: v_dual_cndmask_b32 v8, v9, v8
.LBB0_4:                                ;   in Loop: Header=BB0_2 Depth=1
	s_wait_alu 0xfffe
	s_and_not1_saveexec_b32 s2, s20
	s_cbranch_execz .LBB0_6
; %bb.5:                                ;   in Loop: Header=BB0_2 Depth=1
	v_cvt_f32_u32_e32 v4, s18
	s_sub_co_i32 s20, 0, s18
	s_delay_alu instid0(VALU_DEP_1) | instskip(NEXT) | instid1(TRANS32_DEP_1)
	v_rcp_iflag_f32_e32 v4, v4
	v_mul_f32_e32 v4, 0x4f7ffffe, v4
	s_delay_alu instid0(VALU_DEP_1) | instskip(SKIP_1) | instid1(VALU_DEP_1)
	v_cvt_u32_f32_e32 v4, v4
	s_wait_alu 0xfffe
	v_mul_lo_u32 v7, s20, v4
	s_delay_alu instid0(VALU_DEP_1) | instskip(NEXT) | instid1(VALU_DEP_1)
	v_mul_hi_u32 v7, v4, v7
	v_add_nc_u32_e32 v4, v4, v7
	s_delay_alu instid0(VALU_DEP_1) | instskip(NEXT) | instid1(VALU_DEP_1)
	v_mul_hi_u32 v4, v5, v4
	v_mul_lo_u32 v7, v4, s18
	v_add_nc_u32_e32 v8, 1, v4
	s_delay_alu instid0(VALU_DEP_2) | instskip(NEXT) | instid1(VALU_DEP_1)
	v_sub_nc_u32_e32 v7, v5, v7
	v_subrev_nc_u32_e32 v9, s18, v7
	v_cmp_le_u32_e32 vcc_lo, s18, v7
	s_wait_alu 0xfffd
	s_delay_alu instid0(VALU_DEP_2) | instskip(NEXT) | instid1(VALU_DEP_1)
	v_dual_cndmask_b32 v7, v7, v9 :: v_dual_cndmask_b32 v4, v4, v8
	v_cmp_le_u32_e32 vcc_lo, s18, v7
	s_delay_alu instid0(VALU_DEP_2) | instskip(SKIP_1) | instid1(VALU_DEP_1)
	v_add_nc_u32_e32 v8, 1, v4
	s_wait_alu 0xfffd
	v_dual_cndmask_b32 v7, v4, v8 :: v_dual_mov_b32 v8, v3
.LBB0_6:                                ;   in Loop: Header=BB0_2 Depth=1
	s_wait_alu 0xfffe
	s_or_b32 exec_lo, exec_lo, s2
	s_load_b64 s[20:21], s[12:13], 0x0
	s_delay_alu instid0(VALU_DEP_1)
	v_mul_lo_u32 v4, v8, s18
	v_mul_lo_u32 v11, v7, s19
	v_mad_co_u64_u32 v[9:10], null, v7, s18, 0
	s_add_nc_u64 s[14:15], s[14:15], 1
	s_add_nc_u64 s[12:13], s[12:13], 8
	s_wait_alu 0xfffe
	v_cmp_ge_u64_e64 s2, s[14:15], s[6:7]
	s_add_nc_u64 s[16:17], s[16:17], 8
	s_delay_alu instid0(VALU_DEP_2) | instskip(NEXT) | instid1(VALU_DEP_3)
	v_add3_u32 v4, v10, v11, v4
	v_sub_co_u32 v5, vcc_lo, v5, v9
	s_wait_alu 0xfffd
	s_delay_alu instid0(VALU_DEP_2) | instskip(SKIP_3) | instid1(VALU_DEP_2)
	v_sub_co_ci_u32_e32 v4, vcc_lo, v6, v4, vcc_lo
	s_and_b32 vcc_lo, exec_lo, s2
	s_wait_kmcnt 0x0
	v_mul_lo_u32 v6, s21, v5
	v_mul_lo_u32 v4, s20, v4
	v_mad_co_u64_u32 v[1:2], null, s20, v5, v[1:2]
	s_delay_alu instid0(VALU_DEP_1)
	v_add3_u32 v2, v6, v2, v4
	s_wait_alu 0xfffe
	s_cbranch_vccnz .LBB0_9
; %bb.7:                                ;   in Loop: Header=BB0_2 Depth=1
	v_dual_mov_b32 v5, v7 :: v_dual_mov_b32 v6, v8
	s_branch .LBB0_2
.LBB0_8:
	v_dual_mov_b32 v8, v6 :: v_dual_mov_b32 v7, v5
.LBB0_9:
	s_lshl_b64 s[2:3], s[6:7], 3
	v_mul_hi_u32 v5, 0x253c826, v0
	s_wait_alu 0xfffe
	s_add_nc_u64 s[2:3], s[10:11], s[2:3]
	s_load_b64 s[2:3], s[2:3], 0x0
	s_load_b64 s[0:1], s[0:1], 0x20
	s_wait_kmcnt 0x0
	v_mul_lo_u32 v3, s2, v8
	v_mul_lo_u32 v4, s3, v7
	v_mad_co_u64_u32 v[1:2], null, s2, v7, v[1:2]
	v_cmp_gt_u64_e32 vcc_lo, s[0:1], v[7:8]
	s_delay_alu instid0(VALU_DEP_2) | instskip(SKIP_1) | instid1(VALU_DEP_2)
	v_add3_u32 v2, v4, v2, v3
	v_mul_u32_u24_e32 v3, 0x6e, v5
	v_lshlrev_b64_e32 v[82:83], 4, v[1:2]
	s_delay_alu instid0(VALU_DEP_2)
	v_sub_nc_u32_e32 v80, v0, v3
	s_and_saveexec_b32 s1, vcc_lo
	s_cbranch_execz .LBB0_13
; %bb.10:
	v_mov_b32_e32 v81, 0
	s_delay_alu instid0(VALU_DEP_3) | instskip(SKIP_2) | instid1(VALU_DEP_3)
	v_add_co_u32 v0, s0, s8, v82
	s_wait_alu 0xf1ff
	v_add_co_ci_u32_e64 v1, s0, s9, v83, s0
	v_lshlrev_b64_e32 v[2:3], 4, v[80:81]
	v_lshl_add_u32 v38, v80, 4, 0
	s_mov_b32 s2, exec_lo
	s_delay_alu instid0(VALU_DEP_2) | instskip(SKIP_1) | instid1(VALU_DEP_3)
	v_add_co_u32 v34, s0, v0, v2
	s_wait_alu 0xf1ff
	v_add_co_ci_u32_e64 v35, s0, v1, v3, s0
	s_clause 0x8
	global_load_b128 v[2:5], v[34:35], off
	global_load_b128 v[6:9], v[34:35], off offset:1760
	global_load_b128 v[10:13], v[34:35], off offset:3520
	;; [unrolled: 1-line block ×8, first 2 shown]
	s_wait_loadcnt 0x8
	ds_store_b128 v38, v[2:5]
	s_wait_loadcnt 0x7
	ds_store_b128 v38, v[6:9] offset:1760
	s_wait_loadcnt 0x6
	ds_store_b128 v38, v[10:13] offset:3520
	;; [unrolled: 2-line block ×8, first 2 shown]
	v_cmpx_eq_u32_e32 0x6d, v80
	s_cbranch_execz .LBB0_12
; %bb.11:
	global_load_b128 v[0:3], v[0:1], off offset:15840
	v_mov_b32_e32 v80, 0x6d
	s_wait_loadcnt 0x0
	ds_store_b128 v81, v[0:3] offset:15840
.LBB0_12:
	s_wait_alu 0xfffe
	s_or_b32 exec_lo, exec_lo, s2
.LBB0_13:
	s_wait_alu 0xfffe
	s_or_b32 exec_lo, exec_lo, s1
	v_lshlrev_b32_e32 v10, 4, v80
	global_wb scope:SCOPE_SE
	s_wait_dscnt 0x0
	s_barrier_signal -1
	s_barrier_wait -1
	global_inv scope:SCOPE_SE
	v_add_nc_u32_e32 v84, 0, v10
	v_sub_nc_u32_e32 v11, 0, v10
	s_mov_b32 s1, exec_lo
                                        ; implicit-def: $vgpr4_vgpr5
	ds_load_b64 v[6:7], v84
	ds_load_b64 v[8:9], v11 offset:15840
	s_wait_dscnt 0x0
	v_add_f64_e32 v[0:1], v[6:7], v[8:9]
	v_add_f64_e64 v[2:3], v[6:7], -v[8:9]
	v_cmpx_ne_u32_e32 0, v80
	s_wait_alu 0xfffe
	s_xor_b32 s1, exec_lo, s1
	s_cbranch_execz .LBB0_15
; %bb.14:
	v_mov_b32_e32 v81, 0
	v_add_f64_e32 v[14:15], v[6:7], v[8:9]
	v_add_f64_e64 v[16:17], v[6:7], -v[8:9]
	s_delay_alu instid0(VALU_DEP_3) | instskip(NEXT) | instid1(VALU_DEP_1)
	v_lshlrev_b64_e32 v[0:1], 4, v[80:81]
	v_add_co_u32 v0, s0, s4, v0
	s_wait_alu 0xf1ff
	s_delay_alu instid0(VALU_DEP_2)
	v_add_co_ci_u32_e64 v1, s0, s5, v1, s0
	global_load_b128 v[2:5], v[0:1], off offset:15808
	ds_load_b64 v[0:1], v11 offset:15848
	ds_load_b64 v[12:13], v84 offset:8
	s_wait_dscnt 0x0
	v_add_f64_e32 v[6:7], v[0:1], v[12:13]
	v_add_f64_e64 v[0:1], v[12:13], -v[0:1]
	s_wait_loadcnt 0x0
	v_fma_f64 v[8:9], v[16:17], v[4:5], v[14:15]
	v_fma_f64 v[12:13], -v[16:17], v[4:5], v[14:15]
	s_delay_alu instid0(VALU_DEP_3) | instskip(SKIP_1) | instid1(VALU_DEP_4)
	v_fma_f64 v[14:15], v[6:7], v[4:5], -v[0:1]
	v_fma_f64 v[4:5], v[6:7], v[4:5], v[0:1]
	v_fma_f64 v[0:1], -v[6:7], v[2:3], v[8:9]
	s_delay_alu instid0(VALU_DEP_4) | instskip(NEXT) | instid1(VALU_DEP_4)
	v_fma_f64 v[6:7], v[6:7], v[2:3], v[12:13]
	v_fma_f64 v[8:9], v[16:17], v[2:3], v[14:15]
	s_delay_alu instid0(VALU_DEP_4)
	v_fma_f64 v[2:3], v[16:17], v[2:3], v[4:5]
	v_dual_mov_b32 v4, v80 :: v_dual_mov_b32 v5, v81
	ds_store_b128 v11, v[6:9] offset:15840
.LBB0_15:
	s_wait_alu 0xfffe
	s_and_not1_saveexec_b32 s0, s1
	s_cbranch_execz .LBB0_17
; %bb.16:
	v_mov_b32_e32 v8, 0
	ds_load_b128 v[4:7], v8 offset:7920
	s_wait_dscnt 0x0
	v_add_f64_e32 v[12:13], v[4:5], v[4:5]
	v_mul_f64_e32 v[14:15], -2.0, v[6:7]
	v_mov_b32_e32 v4, 0
	v_mov_b32_e32 v5, 0
	ds_store_b128 v8, v[12:15] offset:7920
.LBB0_17:
	s_wait_alu 0xfffe
	s_or_b32 exec_lo, exec_lo, s0
	v_lshlrev_b64_e32 v[4:5], 4, v[4:5]
	s_add_nc_u64 s[0:1], s[4:5], 0x3dc0
	s_wait_alu 0xfffe
	s_delay_alu instid0(VALU_DEP_1) | instskip(SKIP_1) | instid1(VALU_DEP_2)
	v_add_co_u32 v4, s0, s0, v4
	s_wait_alu 0xf1ff
	v_add_co_ci_u32_e64 v5, s0, s1, v5, s0
	v_cmp_gt_u32_e64 s0, 55, v80
	s_clause 0x1
	global_load_b128 v[6:9], v[4:5], off offset:1760
	global_load_b128 v[12:15], v[4:5], off offset:3520
	ds_store_b128 v84, v[0:3]
	ds_load_b128 v[0:3], v84 offset:1760
	ds_load_b128 v[16:19], v11 offset:14080
	global_load_b128 v[20:23], v[4:5], off offset:5280
	s_wait_dscnt 0x0
	v_add_f64_e32 v[24:25], v[0:1], v[16:17]
	v_add_f64_e32 v[26:27], v[18:19], v[2:3]
	v_add_f64_e64 v[28:29], v[0:1], -v[16:17]
	v_add_f64_e64 v[0:1], v[2:3], -v[18:19]
	s_wait_loadcnt 0x2
	s_delay_alu instid0(VALU_DEP_2) | instskip(NEXT) | instid1(VALU_DEP_2)
	v_fma_f64 v[2:3], v[28:29], v[8:9], v[24:25]
	v_fma_f64 v[16:17], v[26:27], v[8:9], v[0:1]
	v_fma_f64 v[18:19], -v[28:29], v[8:9], v[24:25]
	v_fma_f64 v[8:9], v[26:27], v[8:9], -v[0:1]
	s_delay_alu instid0(VALU_DEP_4) | instskip(NEXT) | instid1(VALU_DEP_4)
	v_fma_f64 v[0:1], -v[26:27], v[6:7], v[2:3]
	v_fma_f64 v[2:3], v[28:29], v[6:7], v[16:17]
	s_delay_alu instid0(VALU_DEP_4) | instskip(NEXT) | instid1(VALU_DEP_4)
	v_fma_f64 v[16:17], v[26:27], v[6:7], v[18:19]
	v_fma_f64 v[18:19], v[28:29], v[6:7], v[8:9]
	ds_store_b128 v84, v[0:3] offset:1760
	ds_store_b128 v11, v[16:19] offset:14080
	ds_load_b128 v[0:3], v84 offset:3520
	ds_load_b128 v[6:9], v11 offset:12320
	s_wait_dscnt 0x0
	v_add_f64_e32 v[16:17], v[0:1], v[6:7]
	v_add_f64_e32 v[18:19], v[8:9], v[2:3]
	v_add_f64_e64 v[24:25], v[0:1], -v[6:7]
	v_add_f64_e64 v[0:1], v[2:3], -v[8:9]
	s_wait_loadcnt 0x1
	s_delay_alu instid0(VALU_DEP_2) | instskip(NEXT) | instid1(VALU_DEP_2)
	v_fma_f64 v[2:3], v[24:25], v[14:15], v[16:17]
	v_fma_f64 v[6:7], v[18:19], v[14:15], v[0:1]
	v_fma_f64 v[8:9], -v[24:25], v[14:15], v[16:17]
	v_fma_f64 v[14:15], v[18:19], v[14:15], -v[0:1]
	s_delay_alu instid0(VALU_DEP_4) | instskip(NEXT) | instid1(VALU_DEP_4)
	v_fma_f64 v[0:1], -v[18:19], v[12:13], v[2:3]
	v_fma_f64 v[2:3], v[24:25], v[12:13], v[6:7]
	s_delay_alu instid0(VALU_DEP_4) | instskip(NEXT) | instid1(VALU_DEP_4)
	v_fma_f64 v[6:7], v[18:19], v[12:13], v[8:9]
	v_fma_f64 v[8:9], v[24:25], v[12:13], v[14:15]
	ds_store_b128 v84, v[0:3] offset:3520
	ds_store_b128 v11, v[6:9] offset:12320
	ds_load_b128 v[0:3], v84 offset:5280
	ds_load_b128 v[6:9], v11 offset:10560
	s_wait_dscnt 0x0
	v_add_f64_e32 v[12:13], v[0:1], v[6:7]
	v_add_f64_e32 v[14:15], v[8:9], v[2:3]
	v_add_f64_e64 v[16:17], v[0:1], -v[6:7]
	v_add_f64_e64 v[0:1], v[2:3], -v[8:9]
	s_wait_loadcnt 0x0
	s_delay_alu instid0(VALU_DEP_2) | instskip(NEXT) | instid1(VALU_DEP_2)
	v_fma_f64 v[2:3], v[16:17], v[22:23], v[12:13]
	v_fma_f64 v[6:7], v[14:15], v[22:23], v[0:1]
	v_fma_f64 v[8:9], -v[16:17], v[22:23], v[12:13]
	v_fma_f64 v[12:13], v[14:15], v[22:23], -v[0:1]
	s_delay_alu instid0(VALU_DEP_4) | instskip(NEXT) | instid1(VALU_DEP_4)
	v_fma_f64 v[0:1], -v[14:15], v[20:21], v[2:3]
	v_fma_f64 v[2:3], v[16:17], v[20:21], v[6:7]
	s_delay_alu instid0(VALU_DEP_4) | instskip(NEXT) | instid1(VALU_DEP_4)
	v_fma_f64 v[6:7], v[14:15], v[20:21], v[8:9]
	v_fma_f64 v[8:9], v[16:17], v[20:21], v[12:13]
	ds_store_b128 v84, v[0:3] offset:5280
	ds_store_b128 v11, v[6:9] offset:10560
	s_and_saveexec_b32 s1, s0
	s_cbranch_execz .LBB0_19
; %bb.18:
	global_load_b128 v[0:3], v[4:5], off offset:7040
	ds_load_b128 v[4:7], v84 offset:7040
	ds_load_b128 v[12:15], v11 offset:8800
	s_wait_dscnt 0x0
	v_add_f64_e32 v[8:9], v[4:5], v[12:13]
	v_add_f64_e32 v[16:17], v[14:15], v[6:7]
	v_add_f64_e64 v[12:13], v[4:5], -v[12:13]
	v_add_f64_e64 v[4:5], v[6:7], -v[14:15]
	s_wait_loadcnt 0x0
	s_delay_alu instid0(VALU_DEP_2) | instskip(NEXT) | instid1(VALU_DEP_2)
	v_fma_f64 v[6:7], v[12:13], v[2:3], v[8:9]
	v_fma_f64 v[14:15], v[16:17], v[2:3], v[4:5]
	v_fma_f64 v[8:9], -v[12:13], v[2:3], v[8:9]
	v_fma_f64 v[18:19], v[16:17], v[2:3], -v[4:5]
	s_delay_alu instid0(VALU_DEP_4) | instskip(NEXT) | instid1(VALU_DEP_4)
	v_fma_f64 v[2:3], -v[16:17], v[0:1], v[6:7]
	v_fma_f64 v[4:5], v[12:13], v[0:1], v[14:15]
	s_delay_alu instid0(VALU_DEP_4) | instskip(NEXT) | instid1(VALU_DEP_4)
	v_fma_f64 v[6:7], v[16:17], v[0:1], v[8:9]
	v_fma_f64 v[8:9], v[12:13], v[0:1], v[18:19]
	ds_store_b128 v84, v[2:5] offset:7040
	ds_store_b128 v11, v[6:9] offset:8800
.LBB0_19:
	s_wait_alu 0xfffe
	s_or_b32 exec_lo, exec_lo, s1
	global_wb scope:SCOPE_SE
	s_wait_dscnt 0x0
	s_barrier_signal -1
	s_barrier_wait -1
	global_inv scope:SCOPE_SE
	global_wb scope:SCOPE_SE
	s_barrier_signal -1
	s_barrier_wait -1
	global_inv scope:SCOPE_SE
	ds_load_b128 v[0:3], v84 offset:7920
	ds_load_b128 v[11:14], v84
	ds_load_b128 v[15:18], v84 offset:1760
	ds_load_b128 v[19:22], v84 offset:9680
	;; [unrolled: 1-line block ×8, first 2 shown]
	v_add_nc_u32_e32 v8, 0xdc, v80
	v_add_nc_u32_e32 v9, v84, v10
	global_wb scope:SCOPE_SE
	s_wait_dscnt 0x0
	s_barrier_signal -1
	s_barrier_wait -1
	global_inv scope:SCOPE_SE
	v_add_f64_e64 v[43:44], v[11:12], -v[0:1]
	v_add_f64_e64 v[45:46], v[13:14], -v[2:3]
	;; [unrolled: 1-line block ×10, first 2 shown]
	v_add_nc_u32_e32 v40, 0x6e, v80
	v_lshl_add_u32 v41, v8, 5, 0
	v_lshl_add_u32 v39, v80, 5, 0
	s_delay_alu instid0(VALU_DEP_3)
	v_lshl_add_u32 v10, v40, 5, 0
	v_fma_f64 v[11:12], v[11:12], 2.0, -v[43:44]
	v_fma_f64 v[13:14], v[13:14], 2.0, -v[45:46]
	;; [unrolled: 1-line block ×8, first 2 shown]
	ds_store_b128 v9, v[11:14]
	ds_store_b128 v9, v[43:46] offset:16
	ds_store_b128 v10, v[15:18]
	ds_store_b128 v10, v[19:22] offset:16
	;; [unrolled: 2-line block ×3, first 2 shown]
	ds_store_b128 v39, v[31:34] offset:10560
	ds_store_b128 v39, v[35:38] offset:10576
	s_and_saveexec_b32 s1, s0
	s_cbranch_execz .LBB0_21
; %bb.20:
	v_fma_f64 v[6:7], v[6:7], 2.0, -v[2:3]
	v_fma_f64 v[4:5], v[4:5], 2.0, -v[0:1]
	ds_store_b128 v9, v[4:7] offset:14080
	ds_store_b128 v9, v[0:3] offset:14096
.LBB0_21:
	s_wait_alu 0xfffe
	s_or_b32 exec_lo, exec_lo, s1
	v_and_b32_e32 v39, 1, v80
	global_wb scope:SCOPE_SE
	s_wait_dscnt 0x0
	s_barrier_signal -1
	s_barrier_wait -1
	global_inv scope:SCOPE_SE
	v_lshlrev_b32_e32 v9, 5, v39
	s_mov_b32 s0, 0xe8584caa
	s_mov_b32 s1, 0xbfebb67a
	;; [unrolled: 1-line block ×3, first 2 shown]
	s_wait_alu 0xfffe
	s_mov_b32 s2, s0
	s_clause 0x1
	global_load_b128 v[4:7], v9, s[4:5]
	global_load_b128 v[9:12], v9, s[4:5] offset:16
	ds_load_b128 v[13:16], v84 offset:5280
	ds_load_b128 v[17:20], v84 offset:10560
	;; [unrolled: 1-line block ×7, first 2 shown]
	v_and_b32_e32 v79, 0xffff, v8
	v_lshrrev_b32_e32 v77, 1, v40
	v_lshrrev_b32_e32 v78, 1, v8
	s_wait_loadcnt_dscnt 0x106
	v_mul_f64_e32 v[37:38], v[15:16], v[6:7]
	s_wait_loadcnt_dscnt 0x5
	v_mul_f64_e32 v[45:46], v[19:20], v[11:12]
	v_mul_f64_e32 v[47:48], v[13:14], v[6:7]
	;; [unrolled: 1-line block ×3, first 2 shown]
	s_wait_dscnt 0x4
	v_mul_f64_e32 v[51:52], v[23:24], v[6:7]
	s_wait_dscnt 0x3
	v_mul_f64_e32 v[53:54], v[27:28], v[11:12]
	v_mul_f64_e32 v[55:56], v[21:22], v[6:7]
	;; [unrolled: 1-line block ×3, first 2 shown]
	s_wait_dscnt 0x2
	v_mul_f64_e32 v[59:60], v[31:32], v[6:7]
	s_wait_dscnt 0x1
	v_mul_f64_e32 v[61:62], v[35:36], v[11:12]
	v_mul_f64_e32 v[6:7], v[29:30], v[6:7]
	;; [unrolled: 1-line block ×3, first 2 shown]
	v_fma_f64 v[13:14], v[13:14], v[4:5], v[37:38]
	v_fma_f64 v[17:18], v[17:18], v[9:10], v[45:46]
	v_fma_f64 v[15:16], v[15:16], v[4:5], -v[47:48]
	v_fma_f64 v[19:20], v[19:20], v[9:10], -v[49:50]
	v_fma_f64 v[21:22], v[21:22], v[4:5], v[51:52]
	v_fma_f64 v[25:26], v[25:26], v[9:10], v[53:54]
	v_fma_f64 v[23:24], v[23:24], v[4:5], -v[55:56]
	v_fma_f64 v[27:28], v[27:28], v[9:10], -v[57:58]
	;; [unrolled: 4-line block ×3, first 2 shown]
	ds_load_b128 v[4:7], v84
	ds_load_b128 v[9:12], v84 offset:1760
	global_wb scope:SCOPE_SE
	s_wait_dscnt 0x0
	s_barrier_signal -1
	s_barrier_wait -1
	global_inv scope:SCOPE_SE
	v_add_f64_e32 v[55:56], v[4:5], v[13:14]
	v_add_f64_e32 v[37:38], v[13:14], v[17:18]
	v_add_f64_e64 v[67:68], v[13:14], -v[17:18]
	v_add_f64_e32 v[45:46], v[15:16], v[19:20]
	v_add_f64_e64 v[57:58], v[15:16], -v[19:20]
	v_add_f64_e32 v[47:48], v[21:22], v[25:26]
	v_add_f64_e32 v[15:16], v[6:7], v[15:16]
	;; [unrolled: 1-line block ×7, first 2 shown]
	v_add_f64_e64 v[69:70], v[23:24], -v[27:28]
	v_add_f64_e64 v[71:72], v[21:22], -v[25:26]
	v_add_f64_e32 v[63:64], v[41:42], v[29:30]
	v_add_f64_e32 v[65:66], v[43:44], v[31:32]
	v_add_f64_e64 v[73:74], v[31:32], -v[35:36]
	v_add_f64_e64 v[75:76], v[29:30], -v[33:34]
	v_fma_f64 v[37:38], v[37:38], -0.5, v[4:5]
	v_lshrrev_b32_e32 v4, 1, v80
	v_fma_f64 v[45:46], v[45:46], -0.5, v[6:7]
	v_fma_f64 v[47:48], v[47:48], -0.5, v[9:10]
	v_add_f64_e32 v[6:7], v[15:16], v[19:20]
	v_fma_f64 v[49:50], v[49:50], -0.5, v[11:12]
	v_mul_u32_u24_e32 v81, 6, v4
	v_fma_f64 v[51:52], v[51:52], -0.5, v[41:42]
	v_add_f64_e32 v[4:5], v[55:56], v[17:18]
	v_fma_f64 v[53:54], v[53:54], -0.5, v[43:44]
	v_and_b32_e32 v42, 0xff, v80
	v_add_f64_e32 v[9:10], v[59:60], v[25:26]
	v_add_f64_e32 v[11:12], v[61:62], v[27:28]
	;; [unrolled: 1-line block ×4, first 2 shown]
	v_and_b32_e32 v41, 0xff, v40
	v_fma_f64 v[17:18], v[57:58], s[0:1], v[37:38]
	s_wait_alu 0xfffe
	v_fma_f64 v[21:22], v[57:58], s[2:3], v[37:38]
	v_fma_f64 v[19:20], v[67:68], s[2:3], v[45:46]
	;; [unrolled: 1-line block ×11, first 2 shown]
	v_mul_lo_u16 v47, 0xab, v42
	v_mul_lo_u16 v48, 0xab, v41
	v_mul_u32_u24_e32 v49, 0xaaab, v79
	v_mul_u32_u24_e32 v37, 6, v77
	;; [unrolled: 1-line block ×3, first 2 shown]
	v_lshrrev_b16 v73, 10, v47
	v_lshrrev_b16 v74, 10, v48
	v_lshrrev_b32_e32 v75, 18, v49
	v_or_b32_e32 v49, v81, v39
	v_or_b32_e32 v37, v37, v39
	v_mul_lo_u16 v47, v73, 6
	v_mul_lo_u16 v48, v74, 6
	;; [unrolled: 1-line block ×3, first 2 shown]
	v_or_b32_e32 v38, v38, v39
	v_lshl_add_u32 v39, v49, 4, 0
	v_sub_nc_u16 v47, v80, v47
	v_sub_nc_u16 v48, v40, v48
	;; [unrolled: 1-line block ×3, first 2 shown]
	v_lshl_add_u32 v37, v37, 4, 0
	v_lshl_add_u32 v38, v38, 4, 0
	v_and_b32_e32 v76, 0xff, v47
	v_and_b32_e32 v77, 0xff, v48
	;; [unrolled: 1-line block ×3, first 2 shown]
	ds_store_b128 v39, v[4:7]
	ds_store_b128 v39, v[17:20] offset:32
	ds_store_b128 v39, v[21:24] offset:64
	ds_store_b128 v37, v[9:12]
	ds_store_b128 v37, v[25:28] offset:32
	ds_store_b128 v37, v[29:32] offset:64
	;; [unrolled: 3-line block ×3, first 2 shown]
	v_lshlrev_b32_e32 v8, 5, v76
	v_lshlrev_b32_e32 v47, 5, v77
	global_wb scope:SCOPE_SE
	s_wait_dscnt 0x0
	s_barrier_signal -1
	s_barrier_wait -1
	global_inv scope:SCOPE_SE
	s_clause 0x1
	global_load_b128 v[4:7], v8, s[4:5] offset:64
	global_load_b128 v[8:11], v8, s[4:5] offset:80
	v_lshlrev_b32_e32 v24, 5, v78
	s_clause 0x3
	global_load_b128 v[12:15], v47, s[4:5] offset:64
	global_load_b128 v[16:19], v47, s[4:5] offset:80
	;; [unrolled: 1-line block ×4, first 2 shown]
	ds_load_b128 v[28:31], v84 offset:5280
	ds_load_b128 v[32:35], v84 offset:10560
	;; [unrolled: 1-line block ×7, first 2 shown]
	s_wait_loadcnt_dscnt 0x506
	v_mul_f64_e32 v[59:60], v[30:31], v[6:7]
	s_wait_loadcnt_dscnt 0x405
	v_mul_f64_e32 v[61:62], v[34:35], v[10:11]
	v_mul_f64_e32 v[6:7], v[28:29], v[6:7]
	v_mul_f64_e32 v[10:11], v[32:33], v[10:11]
	s_wait_loadcnt_dscnt 0x304
	v_mul_f64_e32 v[63:64], v[38:39], v[14:15]
	s_wait_loadcnt_dscnt 0x203
	v_mul_f64_e32 v[65:66], v[45:46], v[18:19]
	v_mul_f64_e32 v[14:15], v[36:37], v[14:15]
	v_mul_f64_e32 v[18:19], v[43:44], v[18:19]
	;; [unrolled: 6-line block ×3, first 2 shown]
	v_fma_f64 v[28:29], v[28:29], v[4:5], v[59:60]
	v_fma_f64 v[32:33], v[32:33], v[8:9], v[61:62]
	v_fma_f64 v[30:31], v[30:31], v[4:5], -v[6:7]
	v_fma_f64 v[34:35], v[34:35], v[8:9], -v[10:11]
	v_fma_f64 v[36:37], v[36:37], v[12:13], v[63:64]
	v_fma_f64 v[43:44], v[43:44], v[16:17], v[65:66]
	v_fma_f64 v[12:13], v[38:39], v[12:13], -v[14:15]
	v_fma_f64 v[14:15], v[45:46], v[16:17], -v[18:19]
	;; [unrolled: 4-line block ×3, first 2 shown]
	ds_load_b128 v[4:7], v84
	ds_load_b128 v[8:11], v84 offset:1760
	global_wb scope:SCOPE_SE
	s_wait_dscnt 0x0
	s_barrier_signal -1
	s_barrier_wait -1
	global_inv scope:SCOPE_SE
	v_add_f64_e32 v[51:52], v[4:5], v[28:29]
	v_add_f64_e32 v[24:25], v[28:29], v[32:33]
	v_add_f64_e64 v[67:68], v[28:29], -v[32:33]
	v_add_f64_e32 v[26:27], v[30:31], v[34:35]
	v_add_f64_e64 v[53:54], v[30:31], -v[34:35]
	v_add_f64_e32 v[38:39], v[36:37], v[43:44]
	v_add_f64_e32 v[30:31], v[6:7], v[30:31]
	;; [unrolled: 1-line block ×7, first 2 shown]
	v_add_f64_e64 v[69:70], v[12:13], -v[14:15]
	v_add_f64_e64 v[71:72], v[36:37], -v[43:44]
	v_add_f64_e32 v[63:64], v[55:56], v[16:17]
	v_add_f64_e32 v[65:66], v[57:58], v[20:21]
	v_add_f64_e64 v[20:21], v[20:21], -v[22:23]
	v_fma_f64 v[4:5], v[24:25], -0.5, v[4:5]
	v_fma_f64 v[6:7], v[26:27], -0.5, v[6:7]
	;; [unrolled: 1-line block ×3, first 2 shown]
	v_add_f64_e32 v[8:9], v[51:52], v[32:33]
	v_fma_f64 v[45:46], v[45:46], -0.5, v[10:11]
	v_add_f64_e32 v[10:11], v[30:31], v[34:35]
	v_fma_f64 v[47:48], v[47:48], -0.5, v[55:56]
	v_add_f64_e64 v[55:56], v[16:17], -v[18:19]
	v_fma_f64 v[49:50], v[49:50], -0.5, v[57:58]
	v_add_f64_e32 v[24:25], v[59:60], v[43:44]
	v_add_f64_e32 v[26:27], v[61:62], v[14:15]
	;; [unrolled: 1-line block ×4, first 2 shown]
	v_and_b32_e32 v43, 0xffff, v73
	v_and_b32_e32 v44, 0xffff, v74
	s_delay_alu instid0(VALU_DEP_2) | instskip(NEXT) | instid1(VALU_DEP_2)
	v_mul_u32_u24_e32 v43, 0x120, v43
	v_mul_u32_u24_e32 v44, 0x120, v44
	v_fma_f64 v[28:29], v[53:54], s[0:1], v[4:5]
	v_fma_f64 v[32:33], v[53:54], s[2:3], v[4:5]
	;; [unrolled: 1-line block ×12, first 2 shown]
	v_lshlrev_b32_e32 v46, 4, v76
	v_lshlrev_b32_e32 v47, 4, v77
	v_mul_u32_u24_e32 v45, 0x120, v75
	v_lshlrev_b32_e32 v48, 4, v78
	v_cmp_gt_u32_e64 s0, 0x58, v80
	v_add3_u32 v43, 0, v43, v46
	v_add3_u32 v44, 0, v44, v47
	s_delay_alu instid0(VALU_DEP_4)
	v_add3_u32 v45, 0, v45, v48
	ds_store_b128 v43, v[8:11]
	ds_store_b128 v43, v[28:31] offset:96
	ds_store_b128 v43, v[32:35] offset:192
	ds_store_b128 v44, v[24:27]
	ds_store_b128 v44, v[36:39] offset:96
	ds_store_b128 v44, v[4:7] offset:192
	;; [unrolled: 3-line block ×3, first 2 shown]
	global_wb scope:SCOPE_SE
	s_wait_dscnt 0x0
	s_barrier_signal -1
	s_barrier_wait -1
	global_inv scope:SCOPE_SE
	ds_load_b128 v[8:11], v84
	ds_load_b128 v[36:39], v84 offset:3168
	ds_load_b128 v[24:27], v84 offset:6336
	;; [unrolled: 1-line block ×4, first 2 shown]
	s_and_saveexec_b32 s1, s0
	s_cbranch_execz .LBB0_23
; %bb.22:
	ds_load_b128 v[4:7], v84 offset:1760
	ds_load_b128 v[12:15], v84 offset:4928
	;; [unrolled: 1-line block ×5, first 2 shown]
.LBB0_23:
	s_wait_alu 0xfffe
	s_or_b32 exec_lo, exec_lo, s1
	v_mul_lo_u16 v42, v42, 57
	v_mul_lo_u16 v41, v41, 57
	s_mov_b32 s2, 0x134454ff
	s_mov_b32 s3, 0xbfee6f0e
	;; [unrolled: 1-line block ×3, first 2 shown]
	v_lshrrev_b16 v81, 10, v42
	v_lshrrev_b16 v44, 10, v41
	s_wait_alu 0xfffe
	s_mov_b32 s6, s2
	s_delay_alu instid0(VALU_DEP_2) | instskip(NEXT) | instid1(VALU_DEP_1)
	v_mul_lo_u16 v42, v81, 18
	v_sub_nc_u16 v41, v80, v42
	v_mul_lo_u16 v42, v44, 18
	s_delay_alu instid0(VALU_DEP_2) | instskip(NEXT) | instid1(VALU_DEP_2)
	v_and_b32_e32 v111, 0xff, v41
	v_sub_nc_u16 v40, v40, v42
	s_delay_alu instid0(VALU_DEP_2) | instskip(NEXT) | instid1(VALU_DEP_2)
	v_lshlrev_b32_e32 v54, 6, v111
	v_and_b32_e32 v45, 0xff, v40
	s_clause 0x2
	global_load_b128 v[40:43], v54, s[4:5] offset:256
	global_load_b128 v[46:49], v54, s[4:5] offset:272
	;; [unrolled: 1-line block ×3, first 2 shown]
	v_lshlrev_b32_e32 v70, 6, v45
	s_clause 0x4
	global_load_b128 v[54:57], v54, s[4:5] offset:304
	global_load_b128 v[58:61], v70, s[4:5] offset:256
	;; [unrolled: 1-line block ×5, first 2 shown]
	global_wb scope:SCOPE_SE
	s_wait_loadcnt_dscnt 0x0
	s_barrier_signal -1
	s_barrier_wait -1
	global_inv scope:SCOPE_SE
	v_mul_f64_e32 v[74:75], v[38:39], v[42:43]
	v_mul_f64_e32 v[76:77], v[26:27], v[48:49]
	;; [unrolled: 1-line block ×16, first 2 shown]
	v_fma_f64 v[36:37], v[36:37], v[40:41], v[74:75]
	v_fma_f64 v[24:25], v[24:25], v[46:47], v[76:77]
	;; [unrolled: 1-line block ×3, first 2 shown]
	v_fma_f64 v[38:39], v[38:39], v[40:41], -v[42:43]
	v_fma_f64 v[32:33], v[32:33], v[54:55], v[85:86]
	v_fma_f64 v[26:27], v[26:27], v[46:47], -v[48:49]
	v_fma_f64 v[30:31], v[30:31], v[50:51], -v[52:53]
	v_fma_f64 v[34:35], v[34:35], v[54:55], -v[56:57]
	v_fma_f64 v[12:13], v[12:13], v[58:59], v[87:88]
	v_fma_f64 v[16:17], v[16:17], v[62:63], v[89:90]
	v_fma_f64 v[20:21], v[20:21], v[66:67], v[91:92]
	v_fma_f64 v[14:15], v[14:15], v[58:59], -v[60:61]
	v_fma_f64 v[40:41], v[0:1], v[70:71], v[93:94]
	v_fma_f64 v[0:1], v[18:19], v[62:63], -v[64:65]
	v_fma_f64 v[18:19], v[22:23], v[66:67], -v[68:69]
	v_fma_f64 v[22:23], v[2:3], v[70:71], -v[72:73]
	v_add_f64_e32 v[58:59], v[8:9], v[36:37]
	v_add_f64_e32 v[2:3], v[24:25], v[28:29]
	;; [unrolled: 1-line block ×4, first 2 shown]
	v_add_f64_e64 v[70:71], v[36:37], -v[32:33]
	v_add_f64_e32 v[46:47], v[26:27], v[30:31]
	v_add_f64_e32 v[48:49], v[38:39], v[34:35]
	;; [unrolled: 1-line block ×3, first 2 shown]
	v_add_f64_e64 v[66:67], v[38:39], -v[34:35]
	v_add_f64_e32 v[50:51], v[16:17], v[20:21]
	v_add_f64_e32 v[64:65], v[6:7], v[14:15]
	;; [unrolled: 1-line block ×3, first 2 shown]
	v_add_f64_e64 v[68:69], v[26:27], -v[30:31]
	v_add_f64_e32 v[54:55], v[0:1], v[18:19]
	v_add_f64_e32 v[56:57], v[14:15], v[22:23]
	v_add_f64_e64 v[72:73], v[14:15], -v[22:23]
	v_add_f64_e64 v[74:75], v[12:13], -v[40:41]
	v_add_f64_e64 v[76:77], v[32:33], -v[28:29]
	v_add_f64_e64 v[78:79], v[28:29], -v[32:33]
	v_add_f64_e64 v[85:86], v[38:39], -v[26:27]
	v_add_f64_e64 v[87:88], v[34:35], -v[30:31]
	v_add_f64_e64 v[38:39], v[26:27], -v[38:39]
	v_add_f64_e64 v[89:90], v[30:31], -v[34:35]
	v_add_f64_e64 v[91:92], v[12:13], -v[16:17]
	v_add_f64_e64 v[93:94], v[40:41], -v[20:21]
	v_add_f64_e64 v[12:13], v[16:17], -v[12:13]
	v_add_f64_e64 v[95:96], v[20:21], -v[40:41]
	v_add_f64_e64 v[97:98], v[14:15], -v[0:1]
	v_add_f64_e64 v[99:100], v[22:23], -v[18:19]
	v_add_f64_e64 v[14:15], v[0:1], -v[14:15]
	v_add_f64_e64 v[101:102], v[18:19], -v[22:23]
	v_fma_f64 v[2:3], v[2:3], -0.5, v[8:9]
	v_add_f64_e32 v[26:27], v[60:61], v[26:27]
	v_fma_f64 v[8:9], v[42:43], -0.5, v[8:9]
	v_add_f64_e64 v[42:43], v[24:25], -v[28:29]
	v_fma_f64 v[46:47], v[46:47], -0.5, v[10:11]
	v_fma_f64 v[10:11], v[48:49], -0.5, v[10:11]
	v_add_f64_e64 v[48:49], v[0:1], -v[18:19]
	v_fma_f64 v[50:51], v[50:51], -0.5, v[4:5]
	v_add_f64_e32 v[0:1], v[64:65], v[0:1]
	v_fma_f64 v[4:5], v[52:53], -0.5, v[4:5]
	v_add_f64_e64 v[52:53], v[16:17], -v[20:21]
	v_fma_f64 v[54:55], v[54:55], -0.5, v[6:7]
	v_fma_f64 v[6:7], v[56:57], -0.5, v[6:7]
	v_add_f64_e64 v[56:57], v[36:37], -v[24:25]
	v_add_f64_e64 v[36:37], v[24:25], -v[36:37]
	v_add_f64_e32 v[24:25], v[58:59], v[24:25]
	v_add_f64_e32 v[16:17], v[62:63], v[16:17]
	;; [unrolled: 1-line block ×4, first 2 shown]
	v_fma_f64 v[58:59], v[66:67], s[2:3], v[2:3]
	s_wait_alu 0xfffe
	v_fma_f64 v[2:3], v[66:67], s[6:7], v[2:3]
	v_fma_f64 v[60:61], v[68:69], s[6:7], v[8:9]
	;; [unrolled: 1-line block ×15, first 2 shown]
	s_mov_b32 s2, 0x4755a5e
	s_mov_b32 s3, 0xbfe2cf23
	s_mov_b32 s7, 0x3fe2cf23
	s_wait_alu 0xfffe
	s_mov_b32 s6, s2
	v_add_f64_e32 v[56:57], v[56:57], v[76:77]
	v_add_f64_e32 v[36:37], v[36:37], v[78:79]
	;; [unrolled: 1-line block ×10, first 2 shown]
	v_fma_f64 v[20:21], v[68:69], s[2:3], v[58:59]
	s_wait_alu 0xfffe
	v_fma_f64 v[24:25], v[68:69], s[6:7], v[2:3]
	v_fma_f64 v[26:27], v[66:67], s[2:3], v[60:61]
	;; [unrolled: 1-line block ×15, first 2 shown]
	s_mov_b32 s2, 0x372fe950
	s_mov_b32 s3, 0x3fd3c6ef
	v_add_f64_e32 v[0:1], v[12:13], v[32:33]
	v_add_f64_e32 v[2:3], v[14:15], v[34:35]
	;; [unrolled: 1-line block ×4, first 2 shown]
	s_wait_alu 0xfffe
	v_fma_f64 v[40:41], v[56:57], s[2:3], v[20:21]
	v_fma_f64 v[12:13], v[56:57], s[2:3], v[24:25]
	;; [unrolled: 1-line block ×16, first 2 shown]
	v_and_b32_e32 v36, 0xffff, v81
	v_lshlrev_b32_e32 v37, 4, v111
	s_delay_alu instid0(VALU_DEP_2) | instskip(NEXT) | instid1(VALU_DEP_1)
	v_mul_u32_u24_e32 v36, 0x5a0, v36
	v_add3_u32 v36, 0, v36, v37
	ds_store_b128 v36, v[0:3]
	ds_store_b128 v36, v[40:43] offset:288
	ds_store_b128 v36, v[4:7] offset:576
	;; [unrolled: 1-line block ×4, first 2 shown]
	s_and_saveexec_b32 s1, s0
	s_cbranch_execz .LBB0_25
; %bb.24:
	v_and_b32_e32 v36, 0xffff, v44
	v_lshlrev_b32_e32 v37, 4, v45
	s_delay_alu instid0(VALU_DEP_2) | instskip(NEXT) | instid1(VALU_DEP_1)
	v_mul_u32_u24_e32 v36, 0x5a0, v36
	v_add3_u32 v36, 0, v36, v37
	ds_store_b128 v36, v[16:19]
	ds_store_b128 v36, v[20:23] offset:288
	ds_store_b128 v36, v[28:31] offset:576
	;; [unrolled: 1-line block ×4, first 2 shown]
.LBB0_25:
	s_wait_alu 0xfffe
	s_or_b32 exec_lo, exec_lo, s1
	v_cmp_gt_u32_e64 s0, 0x5a, v80
	global_wb scope:SCOPE_SE
	s_wait_dscnt 0x0
	s_barrier_signal -1
	s_barrier_wait -1
	global_inv scope:SCOPE_SE
                                        ; implicit-def: $vgpr38_vgpr39
	s_and_saveexec_b32 s1, s0
	s_cbranch_execz .LBB0_27
; %bb.26:
	ds_load_b128 v[0:3], v84
	ds_load_b128 v[40:43], v84 offset:1440
	ds_load_b128 v[4:7], v84 offset:2880
	;; [unrolled: 1-line block ×10, first 2 shown]
.LBB0_27:
	s_wait_alu 0xfffe
	s_or_b32 exec_lo, exec_lo, s1
	global_wb scope:SCOPE_SE
	s_wait_dscnt 0x0
	s_barrier_signal -1
	s_barrier_wait -1
	global_inv scope:SCOPE_SE
	s_and_saveexec_b32 s28, s0
	s_cbranch_execz .LBB0_29
; %bb.28:
	v_dual_mov_b32 v45, 0 :: v_dual_add_nc_u32 v44, 0xffffffa6, v80
	s_mov_b32 s18, 0xfd768dbf
	s_mov_b32 s19, 0xbfd207e7
	;; [unrolled: 1-line block ×3, first 2 shown]
	s_delay_alu instid0(VALU_DEP_1)
	v_cndmask_b32_e64 v44, v44, v80, s0
	s_mov_b32 s21, 0x3fed1bb4
	s_mov_b32 s20, 0x8eee2c13
	;; [unrolled: 1-line block ×4, first 2 shown]
	v_mul_i32_i24_e32 v44, 10, v44
	s_mov_b32 s17, 0x3fe14ced
	s_mov_b32 s23, 0xbfe14ced
	;; [unrolled: 1-line block ×4, first 2 shown]
	v_lshlrev_b64_e32 v[44:45], 4, v[44:45]
	s_mov_b32 s6, 0x9bcd5057
	s_mov_b32 s13, 0xbfe4f49e
	;; [unrolled: 1-line block ×5, first 2 shown]
	v_add_co_u32 v48, s0, s4, v44
	s_wait_alu 0xf1ff
	v_add_co_ci_u32_e64 v49, s0, s5, v45, s0
	s_mov_b32 s4, 0xbb3a28a1
	s_mov_b32 s5, 0xbfe82f19
	s_wait_alu 0xfffe
	s_mov_b32 s24, s2
	s_clause 0x9
	global_load_b128 v[85:88], v[48:49], off offset:1408
	global_load_b128 v[44:47], v[48:49], off offset:1472
	;; [unrolled: 1-line block ×10, first 2 shown]
	s_mov_b32 s26, s18
	s_mov_b32 s0, 0x640f44db
	;; [unrolled: 1-line block ×7, first 2 shown]
	s_wait_loadcnt 0x9
	v_mul_f64_e32 v[89:90], v[40:41], v[87:88]
	v_mul_f64_e32 v[87:88], v[42:43], v[87:88]
	s_wait_loadcnt 0x8
	v_mul_f64_e32 v[91:92], v[18:19], v[46:47]
	s_wait_loadcnt 0x7
	v_mul_f64_e32 v[93:94], v[4:5], v[54:55]
	v_mul_f64_e32 v[46:47], v[16:17], v[46:47]
	s_wait_loadcnt 0x5
	v_mul_f64_e32 v[95:96], v[14:15], v[78:79]
	v_mul_f64_e32 v[78:79], v[12:13], v[78:79]
	;; [unrolled: 1-line block ×3, first 2 shown]
	s_wait_loadcnt 0x1
	v_mul_f64_e32 v[103:104], v[34:35], v[70:71]
	v_mul_f64_e32 v[70:71], v[32:33], v[70:71]
	;; [unrolled: 1-line block ×8, first 2 shown]
	v_fma_f64 v[42:43], v[42:43], v[85:86], -v[89:90]
	v_mul_f64_e32 v[89:90], v[22:23], v[62:63]
	v_fma_f64 v[40:41], v[40:41], v[85:86], v[87:88]
	v_mul_f64_e32 v[62:63], v[20:21], v[62:63]
	s_wait_loadcnt 0x0
	v_mul_f64_e32 v[85:86], v[26:27], v[50:51]
	v_fma_f64 v[16:17], v[16:17], v[44:45], v[91:92]
	v_fma_f64 v[87:88], v[6:7], v[52:53], -v[93:94]
	v_fma_f64 v[44:45], v[18:19], v[44:45], -v[46:47]
	v_mul_f64_e32 v[50:51], v[24:25], v[50:51]
	v_fma_f64 v[18:19], v[28:29], v[72:73], v[97:98]
	v_fma_f64 v[6:7], v[36:37], v[56:57], v[99:100]
	;; [unrolled: 1-line block ×3, first 2 shown]
	v_fma_f64 v[8:9], v[38:39], v[56:57], -v[58:59]
	v_add_f64_e32 v[91:92], v[2:3], v[42:43]
	v_fma_f64 v[46:47], v[20:21], v[60:61], v[89:90]
	v_fma_f64 v[89:90], v[12:13], v[76:77], v[95:96]
	v_fma_f64 v[76:77], v[14:15], v[76:77], -v[78:79]
	v_fma_f64 v[12:13], v[32:33], v[68:69], v[103:104]
	v_fma_f64 v[14:15], v[34:35], v[68:69], -v[70:71]
	v_fma_f64 v[32:33], v[4:5], v[52:53], v[54:55]
	v_add_f64_e32 v[34:35], v[0:1], v[40:41]
	v_fma_f64 v[20:21], v[30:31], v[72:73], -v[74:75]
	v_fma_f64 v[22:23], v[22:23], v[60:61], -v[62:63]
	;; [unrolled: 1-line block ×3, first 2 shown]
	v_fma_f64 v[4:5], v[24:25], v[48:49], v[85:86]
	v_fma_f64 v[10:11], v[26:27], v[48:49], -v[50:51]
	v_add_f64_e64 v[36:37], v[40:41], -v[6:7]
	v_add_f64_e64 v[56:57], v[42:43], -v[8:9]
	v_add_f64_e32 v[42:43], v[42:43], v[8:9]
	v_add_f64_e32 v[40:41], v[40:41], v[6:7]
	;; [unrolled: 1-line block ×3, first 2 shown]
	v_add_f64_e64 v[48:49], v[16:17], -v[46:47]
	v_add_f64_e64 v[26:27], v[89:90], -v[18:19]
	v_add_f64_e32 v[72:73], v[89:90], v[18:19]
	v_add_f64_e64 v[52:53], v[28:29], -v[12:13]
	v_add_f64_e32 v[70:71], v[28:29], v[12:13]
	v_add_f64_e32 v[34:35], v[34:35], v[32:33]
	v_add_f64_e64 v[38:39], v[76:77], -v[20:21]
	v_add_f64_e64 v[50:51], v[44:45], -v[22:23]
	;; [unrolled: 1-line block ×5, first 2 shown]
	v_mul_f64_e32 v[78:79], s[18:19], v[36:37]
	v_mul_f64_e32 v[91:92], s[4:5], v[36:37]
	;; [unrolled: 1-line block ×3, first 2 shown]
	v_add_f64_e32 v[68:69], v[87:88], v[10:11]
	v_mul_f64_e32 v[97:98], s[2:3], v[36:37]
	v_mul_f64_e32 v[105:106], s[2:3], v[56:57]
	;; [unrolled: 1-line block ×4, first 2 shown]
	v_add_f64_e32 v[62:63], v[76:77], v[20:21]
	v_add_f64_e32 v[66:67], v[30:31], v[14:15]
	;; [unrolled: 1-line block ×4, first 2 shown]
	v_mul_f64_e32 v[87:88], s[20:21], v[48:49]
	v_mul_f64_e32 v[74:75], s[20:21], v[26:27]
	v_add_f64_e32 v[30:31], v[32:33], v[4:5]
	v_mul_f64_e32 v[95:96], s[20:21], v[52:53]
	v_mul_f64_e32 v[119:120], s[4:5], v[52:53]
	;; [unrolled: 1-line block ×3, first 2 shown]
	v_add_f64_e32 v[28:29], v[34:35], v[28:29]
	v_mul_f64_e32 v[34:35], s[4:5], v[56:57]
	v_mul_f64_e32 v[85:86], s[20:21], v[38:39]
	;; [unrolled: 1-line block ×4, first 2 shown]
	s_mov_b32 s21, 0xbfed1bb4
	s_wait_alu 0xfffe
	v_mul_f64_e32 v[123:124], s[26:27], v[52:53]
	v_mul_f64_e32 v[36:37], s[20:21], v[36:37]
	;; [unrolled: 1-line block ×12, first 2 shown]
	v_fma_f64 v[153:154], v[42:43], s[6:7], v[78:79]
	v_fma_f64 v[78:79], v[42:43], s[6:7], -v[78:79]
	v_fma_f64 v[159:160], v[40:41], s[6:7], -v[103:104]
	v_fma_f64 v[103:104], v[40:41], s[6:7], v[103:104]
	v_fma_f64 v[155:156], v[42:43], s[0:1], v[97:98]
	v_fma_f64 v[97:98], v[42:43], s[0:1], -v[97:98]
	v_fma_f64 v[163:164], v[40:41], s[0:1], -v[105:106]
	v_fma_f64 v[105:106], v[40:41], s[0:1], v[105:106]
	;; [unrolled: 4-line block ×3, first 2 shown]
	v_add_f64_e32 v[32:33], v[16:17], v[46:47]
	v_add_f64_e32 v[24:25], v[24:25], v[76:77]
	v_mul_f64_e32 v[76:77], s[4:5], v[64:65]
	v_mul_f64_e32 v[64:65], s[20:21], v[64:65]
	;; [unrolled: 1-line block ×4, first 2 shown]
	v_fma_f64 v[167:168], v[66:67], s[12:13], v[119:120]
	v_fma_f64 v[119:120], v[66:67], s[12:13], -v[119:120]
	v_add_f64_e32 v[28:29], v[28:29], v[89:90]
	v_fma_f64 v[89:90], v[42:43], s[12:13], v[91:92]
	v_fma_f64 v[91:92], v[42:43], s[12:13], -v[91:92]
	v_fma_f64 v[161:162], v[40:41], s[12:13], -v[34:35]
	v_fma_f64 v[34:35], v[40:41], s[12:13], v[34:35]
	v_fma_f64 v[169:170], v[66:67], s[10:11], v[121:122]
	v_fma_f64 v[121:122], v[66:67], s[10:11], -v[121:122]
	v_fma_f64 v[181:182], v[42:43], s[14:15], v[36:37]
	v_fma_f64 v[36:37], v[42:43], s[14:15], -v[36:37]
	;; [unrolled: 2-line block ×3, first 2 shown]
	v_fma_f64 v[171:172], v[66:67], s[14:15], v[95:96]
	v_fma_f64 v[173:174], v[66:67], s[0:1], v[52:53]
	v_fma_f64 v[52:53], v[66:67], s[0:1], -v[52:53]
	v_fma_f64 v[175:176], v[68:69], s[0:1], v[127:128]
	v_fma_f64 v[127:128], v[68:69], s[0:1], -v[127:128]
	;; [unrolled: 2-line block ×4, first 2 shown]
	v_fma_f64 v[183:184], v[30:31], s[6:7], -v[137:138]
	v_fma_f64 v[137:138], v[30:31], s[6:7], v[137:138]
	v_add_f64_e32 v[159:160], v[0:1], v[159:160]
	v_fma_f64 v[187:188], v[68:69], s[14:15], v[58:59]
	v_fma_f64 v[58:59], v[68:69], s[14:15], -v[58:59]
	v_add_f64_e32 v[153:154], v[2:3], v[153:154]
	v_add_f64_e32 v[97:98], v[2:3], v[97:98]
	;; [unrolled: 1-line block ×3, first 2 shown]
	v_mul_f64_e32 v[143:144], s[26:27], v[54:55]
	v_mul_f64_e32 v[54:55], s[2:3], v[54:55]
	v_add_f64_e32 v[155:156], v[2:3], v[155:156]
	v_add_f64_e32 v[24:25], v[24:25], v[44:45]
	v_fma_f64 v[44:45], v[66:67], s[14:15], -v[95:96]
	v_fma_f64 v[95:96], v[66:67], s[6:7], v[123:124]
	v_fma_f64 v[123:124], v[66:67], s[6:7], -v[123:124]
	v_fma_f64 v[66:67], v[68:69], s[10:11], v[125:126]
	;; [unrolled: 2-line block ×3, first 2 shown]
	v_add_f64_e32 v[16:17], v[28:29], v[16:17]
	v_fma_f64 v[28:29], v[68:69], s[12:13], -v[131:132]
	v_fma_f64 v[131:132], v[30:31], s[10:11], v[133:134]
	v_fma_f64 v[133:134], v[30:31], s[0:1], -v[135:136]
	v_fma_f64 v[135:136], v[30:31], s[0:1], v[135:136]
	v_fma_f64 v[76:77], v[30:31], s[12:13], -v[76:77]
	v_add_f64_e32 v[68:69], v[2:3], v[78:79]
	v_fma_f64 v[78:79], v[30:31], s[14:15], v[64:65]
	v_fma_f64 v[30:31], v[30:31], s[14:15], -v[64:65]
	v_add_f64_e32 v[64:65], v[0:1], v[103:104]
	v_add_f64_e32 v[89:90], v[2:3], v[89:90]
	;; [unrolled: 1-line block ×14, first 2 shown]
	v_mul_f64_e32 v[115:116], s[18:19], v[26:27]
	v_mul_f64_e32 v[117:118], s[22:23], v[26:27]
	;; [unrolled: 1-line block ×8, first 2 shown]
	v_add_f64_e32 v[22:23], v[24:25], v[22:23]
	v_fma_f64 v[103:104], v[70:71], s[12:13], -v[139:140]
	v_fma_f64 v[139:140], v[70:71], s[12:13], v[139:140]
	v_fma_f64 v[24:25], v[70:71], s[10:11], -v[141:142]
	v_fma_f64 v[141:142], v[70:71], s[10:11], v[141:142]
	v_add_f64_e32 v[56:57], v[56:57], v[159:160]
	v_add_f64_e32 v[66:67], v[66:67], v[153:154]
	;; [unrolled: 1-line block ×3, first 2 shown]
	v_fma_f64 v[46:47], v[70:71], s[14:15], v[99:100]
	v_add_f64_e32 v[97:98], v[129:130], v[97:98]
	v_add_f64_e32 v[105:106], v[137:138], v[105:106]
	v_fma_f64 v[42:43], v[70:71], s[14:15], -v[99:100]
	v_fma_f64 v[99:100], v[70:71], s[6:7], -v[143:144]
	v_add_f64_e32 v[68:69], v[125:126], v[68:69]
	v_fma_f64 v[143:144], v[70:71], s[6:7], v[143:144]
	v_fma_f64 v[165:166], v[70:71], s[0:1], -v[54:55]
	v_add_f64_e32 v[64:65], v[131:132], v[64:65]
	v_add_f64_e32 v[89:90], v[175:176], v[89:90]
	;; [unrolled: 1-line block ×5, first 2 shown]
	v_fma_f64 v[54:55], v[70:71], s[0:1], v[54:55]
	v_add_f64_e32 v[127:128], v[177:178], v[155:156]
	v_add_f64_e32 v[78:79], v[78:79], v[107:108]
	v_add_f64_e32 v[58:59], v[58:59], v[101:102]
	v_add_f64_e32 v[2:3], v[28:29], v[2:3]
	v_add_f64_e32 v[28:29], v[185:186], v[36:37]
	v_add_f64_e32 v[135:136], v[183:184], v[163:164]
	v_add_f64_e32 v[36:37], v[179:180], v[181:182]
	v_add_f64_e32 v[40:41], v[76:77], v[40:41]
	v_add_f64_e32 v[129:130], v[187:188], v[157:158]
	v_add_f64_e32 v[0:1], v[30:31], v[0:1]
	v_mul_f64_e32 v[70:71], s[2:3], v[50:51]
	v_fma_f64 v[175:176], v[62:63], s[14:15], v[74:75]
	v_fma_f64 v[74:75], v[62:63], s[14:15], -v[74:75]
	v_fma_f64 v[161:162], v[62:63], s[6:7], v[115:116]
	v_fma_f64 v[115:116], v[62:63], s[6:7], -v[115:116]
	v_fma_f64 v[30:31], v[62:63], s[0:1], v[145:146]
	v_add_f64_e32 v[20:21], v[22:23], v[20:21]
	v_fma_f64 v[22:23], v[62:63], s[10:11], -v[117:118]
	v_fma_f64 v[76:77], v[62:63], s[0:1], -v[145:146]
	v_fma_f64 v[101:102], v[62:63], s[12:13], v[26:27]
	v_fma_f64 v[26:27], v[62:63], s[12:13], -v[26:27]
	v_fma_f64 v[107:108], v[72:73], s[6:7], -v[147:148]
	;; [unrolled: 1-line block ×3, first 2 shown]
	v_add_f64_e32 v[16:17], v[16:17], v[18:19]
	v_fma_f64 v[18:19], v[62:63], s[10:11], v[117:118]
	v_fma_f64 v[62:63], v[72:73], s[14:15], -v[85:86]
	v_fma_f64 v[85:86], v[72:73], s[14:15], v[85:86]
	v_fma_f64 v[117:118], v[72:73], s[6:7], v[147:148]
	;; [unrolled: 1-line block ×3, first 2 shown]
	v_fma_f64 v[147:148], v[72:73], s[0:1], -v[151:152]
	v_fma_f64 v[149:150], v[72:73], s[0:1], v[151:152]
	v_fma_f64 v[151:152], v[72:73], s[12:13], -v[38:39]
	v_fma_f64 v[38:39], v[72:73], s[12:13], v[38:39]
	v_add_f64_e32 v[56:57], v[103:104], v[56:57]
	v_add_f64_e32 v[68:69], v[119:120], v[68:69]
	;; [unrolled: 1-line block ×6, first 2 shown]
	v_mul_f64_e32 v[109:110], s[2:3], v[48:49]
	v_mul_f64_e32 v[111:112], s[4:5], v[48:49]
	;; [unrolled: 1-line block ×7, first 2 shown]
	v_add_f64_e32 v[66:67], v[167:168], v[66:67]
	v_add_f64_e32 v[24:25], v[24:25], v[133:134]
	;; [unrolled: 1-line block ×16, first 2 shown]
	v_fma_f64 v[131:132], v[60:61], s[14:15], v[87:88]
	v_fma_f64 v[87:88], v[60:61], s[14:15], -v[87:88]
	v_fma_f64 v[16:17], v[32:33], s[0:1], -v[70:71]
	v_fma_f64 v[20:21], v[32:33], s[0:1], v[70:71]
	v_fma_f64 v[70:71], v[32:33], s[14:15], v[93:94]
	v_add_f64_e32 v[56:57], v[62:63], v[56:57]
	v_add_f64_e32 v[62:63], v[74:75], v[68:69]
	v_add_f64_e32 v[64:65], v[85:86], v[64:65]
	v_add_f64_e32 v[68:69], v[115:116], v[89:90]
	v_add_f64_e32 v[34:35], v[117:118], v[34:35]
	v_fma_f64 v[125:126], v[60:61], s[0:1], v[109:110]
	v_fma_f64 v[109:110], v[60:61], s[0:1], -v[109:110]
	v_fma_f64 v[58:59], v[60:61], s[12:13], v[111:112]
	v_fma_f64 v[78:79], v[60:61], s[12:13], -v[111:112]
	;; [unrolled: 2-line block ×4, first 2 shown]
	v_fma_f64 v[60:61], v[32:33], s[14:15], -v[93:94]
	v_fma_f64 v[93:94], v[32:33], s[12:13], -v[153:154]
	v_fma_f64 v[105:106], v[32:33], s[12:13], v[153:154]
	v_fma_f64 v[111:112], v[32:33], s[10:11], -v[159:160]
	v_fma_f64 v[113:114], v[32:33], s[10:11], v[159:160]
	v_fma_f64 v[119:120], v[32:33], s[6:7], -v[50:51]
	v_fma_f64 v[50:51], v[32:33], s[6:7], v[50:51]
	v_add_f64_e32 v[32:33], v[175:176], v[66:67]
	v_add_f64_e32 v[66:67], v[161:162], v[72:73]
	;; [unrolled: 1-line block ×39, first 2 shown]
	ds_store_b128 v84, v[18:21] offset:5760
	ds_store_b128 v84, v[10:13] offset:7200
	;; [unrolled: 1-line block ×9, first 2 shown]
	ds_store_b128 v84, v[6:9]
	ds_store_b128 v84, v[30:33] offset:14400
.LBB0_29:
	s_or_b32 exec_lo, exec_lo, s28
	global_wb scope:SCOPE_SE
	s_wait_dscnt 0x0
	s_barrier_signal -1
	s_barrier_wait -1
	global_inv scope:SCOPE_SE
	s_and_saveexec_b32 s0, vcc_lo
	s_cbranch_execz .LBB0_31
; %bb.30:
	v_dual_mov_b32 v81, 0 :: v_dual_add_nc_u32 v8, 0x6e, v80
	v_add_co_u32 v30, vcc_lo, s8, v82
	v_lshl_add_u32 v28, v80, 4, 0
	s_delay_alu instid0(VALU_DEP_3) | instskip(SKIP_4) | instid1(VALU_DEP_4)
	v_lshlrev_b64_e32 v[0:1], 4, v[80:81]
	s_wait_alu 0xfffd
	v_add_co_ci_u32_e32 v31, vcc_lo, s9, v83, vcc_lo
	v_dual_mov_b32 v9, v81 :: v_dual_add_nc_u32 v10, 0xdc, v80
	v_dual_mov_b32 v11, v81 :: v_dual_add_nc_u32 v22, 0x14a, v80
	v_add_co_u32 v16, vcc_lo, v30, v0
	s_wait_alu 0xfffd
	v_add_co_ci_u32_e32 v17, vcc_lo, v31, v1, vcc_lo
	ds_load_b128 v[0:3], v28
	ds_load_b128 v[4:7], v28 offset:1760
	v_lshlrev_b64_e32 v[18:19], 4, v[8:9]
	v_lshlrev_b64_e32 v[20:21], 4, v[10:11]
	ds_load_b128 v[8:11], v28 offset:3520
	ds_load_b128 v[12:15], v28 offset:5280
	v_dual_mov_b32 v23, v81 :: v_dual_add_nc_u32 v24, 0x1b8, v80
	v_mov_b32_e32 v25, v81
	v_add_co_u32 v18, vcc_lo, v30, v18
	s_delay_alu instid0(VALU_DEP_3)
	v_lshlrev_b64_e32 v[22:23], 4, v[22:23]
	s_wait_alu 0xfffd
	v_add_co_ci_u32_e32 v19, vcc_lo, v31, v19, vcc_lo
	v_add_co_u32 v20, vcc_lo, v30, v20
	s_wait_alu 0xfffd
	v_add_co_ci_u32_e32 v21, vcc_lo, v31, v21, vcc_lo
	v_add_co_u32 v22, vcc_lo, v30, v22
	s_wait_dscnt 0x3
	global_store_b128 v[16:17], v[0:3], off
	s_wait_dscnt 0x2
	global_store_b128 v[18:19], v[4:7], off
	v_dual_mov_b32 v3, v81 :: v_dual_add_nc_u32 v2, 0x226, v80
	s_wait_alu 0xfffd
	v_add_co_ci_u32_e32 v23, vcc_lo, v31, v23, vcc_lo
	v_lshlrev_b64_e32 v[0:1], 4, v[24:25]
	s_wait_dscnt 0x1
	global_store_b128 v[20:21], v[8:11], off
	s_wait_dscnt 0x0
	global_store_b128 v[22:23], v[12:15], off
	v_add_nc_u32_e32 v10, 0x294, v80
	v_lshlrev_b64_e32 v[8:9], 4, v[2:3]
	v_dual_mov_b32 v11, v81 :: v_dual_add_nc_u32 v24, 0x302, v80
	v_add_co_u32 v20, vcc_lo, v30, v0
	s_wait_alu 0xfffd
	v_add_co_ci_u32_e32 v21, vcc_lo, v31, v1, vcc_lo
	s_delay_alu instid0(VALU_DEP_4)
	v_add_co_u32 v22, vcc_lo, v30, v8
	ds_load_b128 v[0:3], v28 offset:7040
	ds_load_b128 v[4:7], v28 offset:8800
	s_wait_alu 0xfffd
	v_add_co_ci_u32_e32 v23, vcc_lo, v31, v9, vcc_lo
	v_lshlrev_b64_e32 v[26:27], 4, v[10:11]
	ds_load_b128 v[8:11], v28 offset:10560
	ds_load_b128 v[12:15], v28 offset:12320
	;; [unrolled: 1-line block ×3, first 2 shown]
	v_add_nc_u32_e32 v80, 0x370, v80
	v_lshlrev_b64_e32 v[24:25], 4, v[24:25]
	v_add_co_u32 v26, vcc_lo, v30, v26
	s_delay_alu instid0(VALU_DEP_3) | instskip(SKIP_2) | instid1(VALU_DEP_4)
	v_lshlrev_b64_e32 v[28:29], 4, v[80:81]
	s_wait_alu 0xfffd
	v_add_co_ci_u32_e32 v27, vcc_lo, v31, v27, vcc_lo
	v_add_co_u32 v24, vcc_lo, v30, v24
	s_wait_alu 0xfffd
	v_add_co_ci_u32_e32 v25, vcc_lo, v31, v25, vcc_lo
	v_add_co_u32 v28, vcc_lo, v30, v28
	s_wait_alu 0xfffd
	v_add_co_ci_u32_e32 v29, vcc_lo, v31, v29, vcc_lo
	s_wait_dscnt 0x4
	global_store_b128 v[20:21], v[0:3], off
	s_wait_dscnt 0x3
	global_store_b128 v[22:23], v[4:7], off
	;; [unrolled: 2-line block ×5, first 2 shown]
.LBB0_31:
	s_nop 0
	s_sendmsg sendmsg(MSG_DEALLOC_VGPRS)
	s_endpgm
	.section	.rodata,"a",@progbits
	.p2align	6, 0x0
	.amdhsa_kernel fft_rtc_back_len990_factors_2_3_3_5_11_wgs_110_tpt_110_dp_ip_CI_unitstride_sbrr_C2R_dirReg
		.amdhsa_group_segment_fixed_size 0
		.amdhsa_private_segment_fixed_size 0
		.amdhsa_kernarg_size 88
		.amdhsa_user_sgpr_count 2
		.amdhsa_user_sgpr_dispatch_ptr 0
		.amdhsa_user_sgpr_queue_ptr 0
		.amdhsa_user_sgpr_kernarg_segment_ptr 1
		.amdhsa_user_sgpr_dispatch_id 0
		.amdhsa_user_sgpr_private_segment_size 0
		.amdhsa_wavefront_size32 1
		.amdhsa_uses_dynamic_stack 0
		.amdhsa_enable_private_segment 0
		.amdhsa_system_sgpr_workgroup_id_x 1
		.amdhsa_system_sgpr_workgroup_id_y 0
		.amdhsa_system_sgpr_workgroup_id_z 0
		.amdhsa_system_sgpr_workgroup_info 0
		.amdhsa_system_vgpr_workitem_id 0
		.amdhsa_next_free_vgpr 189
		.amdhsa_next_free_sgpr 32
		.amdhsa_reserve_vcc 1
		.amdhsa_float_round_mode_32 0
		.amdhsa_float_round_mode_16_64 0
		.amdhsa_float_denorm_mode_32 3
		.amdhsa_float_denorm_mode_16_64 3
		.amdhsa_fp16_overflow 0
		.amdhsa_workgroup_processor_mode 1
		.amdhsa_memory_ordered 1
		.amdhsa_forward_progress 0
		.amdhsa_round_robin_scheduling 0
		.amdhsa_exception_fp_ieee_invalid_op 0
		.amdhsa_exception_fp_denorm_src 0
		.amdhsa_exception_fp_ieee_div_zero 0
		.amdhsa_exception_fp_ieee_overflow 0
		.amdhsa_exception_fp_ieee_underflow 0
		.amdhsa_exception_fp_ieee_inexact 0
		.amdhsa_exception_int_div_zero 0
	.end_amdhsa_kernel
	.text
.Lfunc_end0:
	.size	fft_rtc_back_len990_factors_2_3_3_5_11_wgs_110_tpt_110_dp_ip_CI_unitstride_sbrr_C2R_dirReg, .Lfunc_end0-fft_rtc_back_len990_factors_2_3_3_5_11_wgs_110_tpt_110_dp_ip_CI_unitstride_sbrr_C2R_dirReg
                                        ; -- End function
	.section	.AMDGPU.csdata,"",@progbits
; Kernel info:
; codeLenInByte = 9620
; NumSgprs: 34
; NumVgprs: 189
; ScratchSize: 0
; MemoryBound: 0
; FloatMode: 240
; IeeeMode: 1
; LDSByteSize: 0 bytes/workgroup (compile time only)
; SGPRBlocks: 4
; VGPRBlocks: 23
; NumSGPRsForWavesPerEU: 34
; NumVGPRsForWavesPerEU: 189
; Occupancy: 8
; WaveLimiterHint : 1
; COMPUTE_PGM_RSRC2:SCRATCH_EN: 0
; COMPUTE_PGM_RSRC2:USER_SGPR: 2
; COMPUTE_PGM_RSRC2:TRAP_HANDLER: 0
; COMPUTE_PGM_RSRC2:TGID_X_EN: 1
; COMPUTE_PGM_RSRC2:TGID_Y_EN: 0
; COMPUTE_PGM_RSRC2:TGID_Z_EN: 0
; COMPUTE_PGM_RSRC2:TIDIG_COMP_CNT: 0
	.text
	.p2alignl 7, 3214868480
	.fill 96, 4, 3214868480
	.type	__hip_cuid_a71ad434c69eb253,@object ; @__hip_cuid_a71ad434c69eb253
	.section	.bss,"aw",@nobits
	.globl	__hip_cuid_a71ad434c69eb253
__hip_cuid_a71ad434c69eb253:
	.byte	0                               ; 0x0
	.size	__hip_cuid_a71ad434c69eb253, 1

	.ident	"AMD clang version 19.0.0git (https://github.com/RadeonOpenCompute/llvm-project roc-6.4.0 25133 c7fe45cf4b819c5991fe208aaa96edf142730f1d)"
	.section	".note.GNU-stack","",@progbits
	.addrsig
	.addrsig_sym __hip_cuid_a71ad434c69eb253
	.amdgpu_metadata
---
amdhsa.kernels:
  - .args:
      - .actual_access:  read_only
        .address_space:  global
        .offset:         0
        .size:           8
        .value_kind:     global_buffer
      - .offset:         8
        .size:           8
        .value_kind:     by_value
      - .actual_access:  read_only
        .address_space:  global
        .offset:         16
        .size:           8
        .value_kind:     global_buffer
      - .actual_access:  read_only
        .address_space:  global
        .offset:         24
        .size:           8
        .value_kind:     global_buffer
      - .offset:         32
        .size:           8
        .value_kind:     by_value
      - .actual_access:  read_only
        .address_space:  global
        .offset:         40
        .size:           8
        .value_kind:     global_buffer
      - .actual_access:  read_only
        .address_space:  global
        .offset:         48
        .size:           8
        .value_kind:     global_buffer
      - .offset:         56
        .size:           4
        .value_kind:     by_value
      - .actual_access:  read_only
        .address_space:  global
        .offset:         64
        .size:           8
        .value_kind:     global_buffer
      - .actual_access:  read_only
        .address_space:  global
        .offset:         72
        .size:           8
        .value_kind:     global_buffer
      - .address_space:  global
        .offset:         80
        .size:           8
        .value_kind:     global_buffer
    .group_segment_fixed_size: 0
    .kernarg_segment_align: 8
    .kernarg_segment_size: 88
    .language:       OpenCL C
    .language_version:
      - 2
      - 0
    .max_flat_workgroup_size: 110
    .name:           fft_rtc_back_len990_factors_2_3_3_5_11_wgs_110_tpt_110_dp_ip_CI_unitstride_sbrr_C2R_dirReg
    .private_segment_fixed_size: 0
    .sgpr_count:     34
    .sgpr_spill_count: 0
    .symbol:         fft_rtc_back_len990_factors_2_3_3_5_11_wgs_110_tpt_110_dp_ip_CI_unitstride_sbrr_C2R_dirReg.kd
    .uniform_work_group_size: 1
    .uses_dynamic_stack: false
    .vgpr_count:     189
    .vgpr_spill_count: 0
    .wavefront_size: 32
    .workgroup_processor_mode: 1
amdhsa.target:   amdgcn-amd-amdhsa--gfx1201
amdhsa.version:
  - 1
  - 2
...

	.end_amdgpu_metadata
